;; amdgpu-corpus repo=ROCm/rocFFT kind=compiled arch=gfx906 opt=O3
	.text
	.amdgcn_target "amdgcn-amd-amdhsa--gfx906"
	.amdhsa_code_object_version 6
	.protected	fft_rtc_back_len1331_factors_11_11_11_wgs_121_tpt_121_sp_op_CI_CI_sbrc_aligned_dirReg ; -- Begin function fft_rtc_back_len1331_factors_11_11_11_wgs_121_tpt_121_sp_op_CI_CI_sbrc_aligned_dirReg
	.globl	fft_rtc_back_len1331_factors_11_11_11_wgs_121_tpt_121_sp_op_CI_CI_sbrc_aligned_dirReg
	.p2align	8
	.type	fft_rtc_back_len1331_factors_11_11_11_wgs_121_tpt_121_sp_op_CI_CI_sbrc_aligned_dirReg,@function
fft_rtc_back_len1331_factors_11_11_11_wgs_121_tpt_121_sp_op_CI_CI_sbrc_aligned_dirReg: ; @fft_rtc_back_len1331_factors_11_11_11_wgs_121_tpt_121_sp_op_CI_CI_sbrc_aligned_dirReg
; %bb.0:
	s_load_dwordx8 s[16:23], s[4:5], 0x0
	s_mov_b32 s10, 0
	s_mov_b64 s[12:13], 2
	s_mov_b32 s3, s10
	s_waitcnt lgkmcnt(0)
	s_load_dword s7, s[20:21], 0x8
	s_load_dwordx4 s[28:31], s[4:5], 0x58
	s_load_dwordx2 s[8:9], s[4:5], 0x20
	s_load_dwordx4 s[36:39], s[22:23], 0x0
	v_cmp_gt_u64_e64 s[0:1], s[18:19], 2
	s_waitcnt lgkmcnt(0)
	v_cvt_f32_u32_e32 v1, s7
	s_sub_i32 s2, 0, s7
	s_load_dwordx4 s[24:27], s[8:9], 0x0
	v_rcp_iflag_f32_e32 v1, v1
	v_mul_f32_e32 v1, 0x4f7ffffe, v1
	v_cvt_u32_f32_e32 v1, v1
	v_readfirstlane_b32 s4, v1
	s_mul_i32 s2, s2, s4
	s_mul_hi_u32 s2, s4, s2
	s_add_i32 s4, s4, s2
	s_mul_hi_u32 s2, s6, s4
	s_mul_i32 s4, s2, s7
	s_sub_i32 s4, s6, s4
	s_add_i32 s5, s2, 1
	s_sub_i32 s11, s4, s7
	s_cmp_ge_u32 s4, s7
	s_cselect_b32 s2, s5, s2
	s_cselect_b32 s4, s11, s4
	s_add_i32 s5, s2, 1
	s_cmp_ge_u32 s4, s7
	s_waitcnt lgkmcnt(0)
	s_cselect_b32 s27, s5, s2
	s_and_b64 vcc, exec, s[0:1]
	s_mul_i32 s0, s27, s7
	s_sub_i32 s0, s6, s0
	s_mul_i32 s1, s25, s0
	s_mul_hi_u32 s4, s24, s0
	s_mul_i32 s2, s0, s38
	s_mul_i32 s24, s24, s0
	s_add_i32 s25, s4, s1
	s_cbranch_vccz .LBB0_9
; %bb.1:
	v_mov_b32_e32 v1, s18
	s_mov_b32 s4, 3
	v_mov_b32_e32 v2, s19
.LBB0_2:                                ; =>This Inner Loop Header: Depth=1
	s_lshl_b64 s[12:13], s[12:13], 3
	s_add_u32 s0, s20, s12
	s_addc_u32 s1, s21, s13
	s_load_dwordx2 s[14:15], s[0:1], 0x0
	s_waitcnt lgkmcnt(0)
	s_mov_b32 s11, s15
	s_cmp_lg_u64 s[10:11], 0
	s_cbranch_scc0 .LBB0_7
; %bb.3:                                ;   in Loop: Header=BB0_2 Depth=1
	v_cvt_f32_u32_e32 v3, s14
	v_cvt_f32_u32_e32 v4, s15
	s_sub_u32 s0, 0, s14
	s_subb_u32 s1, 0, s15
	v_mac_f32_e32 v3, 0x4f800000, v4
	v_rcp_f32_e32 v3, v3
	v_mul_f32_e32 v3, 0x5f7ffffc, v3
	v_mul_f32_e32 v4, 0x2f800000, v3
	v_trunc_f32_e32 v4, v4
	v_mac_f32_e32 v3, 0xcf800000, v4
	v_cvt_u32_f32_e32 v4, v4
	v_cvt_u32_f32_e32 v3, v3
	v_readfirstlane_b32 s5, v4
	v_readfirstlane_b32 s11, v3
	s_mul_i32 s33, s0, s5
	s_mul_hi_u32 s35, s0, s11
	s_mul_i32 s34, s1, s11
	s_add_i32 s33, s35, s33
	s_mul_i32 s39, s0, s11
	s_add_i32 s33, s33, s34
	s_mul_hi_u32 s34, s11, s33
	s_mul_i32 s35, s11, s33
	s_mul_hi_u32 s11, s11, s39
	s_add_u32 s11, s11, s35
	s_addc_u32 s34, 0, s34
	s_mul_hi_u32 s40, s5, s39
	s_mul_i32 s39, s5, s39
	s_add_u32 s11, s11, s39
	s_mul_hi_u32 s35, s5, s33
	s_addc_u32 s11, s34, s40
	s_addc_u32 s34, s35, 0
	s_mul_i32 s33, s5, s33
	s_add_u32 s11, s11, s33
	s_addc_u32 s33, 0, s34
	v_add_co_u32_e32 v3, vcc, s11, v3
	s_cmp_lg_u64 vcc, 0
	s_addc_u32 s5, s5, s33
	v_readfirstlane_b32 s33, v3
	s_mul_i32 s11, s0, s5
	s_mul_hi_u32 s34, s0, s33
	s_add_i32 s11, s34, s11
	s_mul_i32 s1, s1, s33
	s_add_i32 s11, s11, s1
	s_mul_i32 s0, s0, s33
	s_mul_hi_u32 s34, s5, s0
	s_mul_i32 s35, s5, s0
	s_mul_i32 s40, s33, s11
	s_mul_hi_u32 s0, s33, s0
	s_mul_hi_u32 s39, s33, s11
	s_add_u32 s0, s0, s40
	s_addc_u32 s33, 0, s39
	s_add_u32 s0, s0, s35
	s_mul_hi_u32 s1, s5, s11
	s_addc_u32 s0, s33, s34
	s_addc_u32 s1, s1, 0
	s_mul_i32 s11, s5, s11
	s_add_u32 s0, s0, s11
	s_addc_u32 s1, 0, s1
	v_add_co_u32_e32 v3, vcc, s0, v3
	s_cmp_lg_u64 vcc, 0
	s_addc_u32 s0, s5, s1
	v_readfirstlane_b32 s5, v3
	s_mul_hi_u32 s1, s27, s0
	s_mul_i32 s0, s27, s0
	s_mul_hi_u32 s5, s27, s5
	s_add_u32 s0, s5, s0
	s_addc_u32 s5, 0, s1
	s_mul_i32 s0, s15, s5
	s_mul_hi_u32 s1, s14, s5
	s_add_i32 s11, s1, s0
	s_mul_i32 s1, s14, s5
	v_mov_b32_e32 v3, s1
	s_sub_i32 s0, 0, s11
	v_sub_co_u32_e32 v3, vcc, s27, v3
	s_cmp_lg_u64 vcc, 0
	s_subb_u32 s33, s0, s15
	v_subrev_co_u32_e64 v4, s[0:1], s14, v3
	s_cmp_lg_u64 s[0:1], 0
	s_subb_u32 s0, s33, 0
	s_cmp_ge_u32 s0, s15
	v_readfirstlane_b32 s33, v4
	s_cselect_b32 s1, -1, 0
	s_cmp_ge_u32 s33, s14
	s_cselect_b32 s33, -1, 0
	s_cmp_eq_u32 s0, s15
	s_cselect_b32 s0, s33, s1
	s_add_u32 s1, s5, 1
	s_addc_u32 s33, 0, 0
	s_add_u32 s34, s5, 2
	s_addc_u32 s35, 0, 0
	s_cmp_lg_u32 s0, 0
	s_cselect_b32 s0, s34, s1
	s_cselect_b32 s1, s35, s33
	s_cmp_lg_u64 vcc, 0
	s_subb_u32 s11, 0, s11
	s_cmp_ge_u32 s11, s15
	v_readfirstlane_b32 s34, v3
	s_cselect_b32 s33, -1, 0
	s_cmp_ge_u32 s34, s14
	s_cselect_b32 s34, -1, 0
	s_cmp_eq_u32 s11, s15
	s_cselect_b32 s11, s34, s33
	s_cmp_lg_u32 s11, 0
	s_cselect_b32 s1, s1, 0
	s_cselect_b32 s0, s0, s5
	s_cbranch_execnz .LBB0_5
.LBB0_4:                                ;   in Loop: Header=BB0_2 Depth=1
	v_cvt_f32_u32_e32 v3, s14
	s_sub_i32 s0, 0, s14
	v_rcp_iflag_f32_e32 v3, v3
	v_mul_f32_e32 v3, 0x4f7ffffe, v3
	v_cvt_u32_f32_e32 v3, v3
	v_readfirstlane_b32 s1, v3
	s_mul_i32 s0, s0, s1
	s_mul_hi_u32 s0, s1, s0
	s_add_i32 s1, s1, s0
	s_mul_hi_u32 s0, s27, s1
	s_mul_i32 s5, s0, s14
	s_sub_i32 s5, s27, s5
	s_add_i32 s1, s0, 1
	s_sub_i32 s11, s5, s14
	s_cmp_ge_u32 s5, s14
	s_cselect_b32 s0, s1, s0
	s_cselect_b32 s5, s11, s5
	s_add_i32 s1, s0, 1
	s_cmp_ge_u32 s5, s14
	s_cselect_b32 s0, s1, s0
	s_mov_b32 s1, s10
.LBB0_5:                                ;   in Loop: Header=BB0_2 Depth=1
	s_mul_i32 s5, s0, s15
	s_mul_hi_u32 s11, s0, s14
	s_add_i32 s5, s11, s5
	s_mul_i32 s1, s1, s14
	s_add_i32 s5, s5, s1
	s_mul_i32 s1, s0, s14
	s_sub_u32 s1, s27, s1
	s_subb_u32 s5, 0, s5
	s_add_u32 s34, s22, s12
	s_addc_u32 s35, s23, s13
	s_load_dwordx2 s[34:35], s[34:35], 0x0
	s_mul_i32 s7, s7, s14
	s_waitcnt lgkmcnt(0)
	s_mul_i32 s11, s34, s5
	s_mul_hi_u32 s15, s34, s1
	s_add_i32 s11, s15, s11
	s_mul_i32 s15, s35, s1
	s_add_i32 s11, s11, s15
	s_mul_i32 s15, s34, s1
	s_add_u32 s2, s15, s2
	s_addc_u32 s3, s11, s3
	s_add_u32 s12, s8, s12
	s_addc_u32 s13, s9, s13
	s_load_dwordx2 s[12:13], s[12:13], 0x0
	s_waitcnt lgkmcnt(0)
	s_mul_i32 s5, s12, s5
	s_mul_hi_u32 s11, s12, s1
	s_add_i32 s5, s11, s5
	s_mul_i32 s11, s13, s1
	s_add_i32 s5, s5, s11
	s_mul_i32 s1, s12, s1
	s_add_u32 s24, s1, s24
	s_addc_u32 s25, s5, s25
	s_mov_b32 s5, s10
	v_cmp_ge_u64_e32 vcc, s[4:5], v[1:2]
	s_mov_b64 s[12:13], s[4:5]
	s_add_i32 s4, s4, 1
	s_cbranch_vccnz .LBB0_8
; %bb.6:                                ;   in Loop: Header=BB0_2 Depth=1
	s_mov_b32 s27, s0
	s_branch .LBB0_2
.LBB0_7:                                ;   in Loop: Header=BB0_2 Depth=1
                                        ; implicit-def: $sgpr0_sgpr1
	s_branch .LBB0_4
.LBB0_8:
	v_cvt_f32_u32_e32 v1, s7
	s_sub_i32 s0, 0, s7
	v_rcp_iflag_f32_e32 v1, v1
	v_mul_f32_e32 v1, 0x4f7ffffe, v1
	v_cvt_u32_f32_e32 v1, v1
	v_readfirstlane_b32 s1, v1
	s_mul_i32 s0, s0, s1
	s_mul_hi_u32 s0, s1, s0
	s_add_i32 s1, s1, s0
	s_mul_hi_u32 s0, s6, s1
	s_mul_i32 s1, s0, s7
	s_sub_i32 s1, s6, s1
	s_add_i32 s4, s0, 1
	s_sub_i32 s5, s1, s7
	s_cmp_ge_u32 s1, s7
	s_cselect_b32 s0, s4, s0
	s_cselect_b32 s1, s5, s1
	s_add_i32 s4, s0, 1
	s_cmp_ge_u32 s1, s7
	s_cselect_b32 s27, s4, s0
.LBB0_9:
	s_lshl_b64 s[0:1], s[18:19], 3
	s_add_u32 s4, s22, s0
	s_addc_u32 s5, s23, s1
	s_load_dwordx2 s[4:5], s[4:5], 0x0
	v_mad_u64_u32 v[1:2], s[6:7], s36, v0, 0
	v_add_u32_e32 v7, 0x79, v0
	v_add_u32_e32 v9, 0xf2, v0
	s_waitcnt lgkmcnt(0)
	s_mul_i32 s5, s5, s27
	s_mul_hi_u32 s6, s4, s27
	s_add_i32 s5, s6, s5
	s_add_u32 s0, s8, s0
	s_addc_u32 s1, s9, s1
	s_load_dwordx2 s[18:19], s[0:1], 0x0
	v_mad_u64_u32 v[2:3], s[0:1], s37, v0, v[2:3]
	s_mul_i32 s4, s4, s27
	s_movk_i32 s20, 0x3c8
	s_waitcnt lgkmcnt(0)
	s_mul_i32 s0, s19, s27
	s_mul_hi_u32 s1, s18, s27
	s_add_i32 s19, s1, s0
	s_lshl_b64 s[0:1], s[4:5], 3
	s_add_u32 s4, s28, s0
	s_addc_u32 s5, s29, s1
	s_lshl_b64 s[0:1], s[2:3], 3
	s_add_u32 s14, s4, s0
	s_addc_u32 s15, s5, s1
	v_mad_u64_u32 v[3:4], s[0:1], s36, v7, 0
	v_lshlrev_b64 v[1:2], 3, v[1:2]
	v_mov_b32_e32 v6, s15
	v_add_co_u32_e32 v5, vcc, s14, v1
	v_mov_b32_e32 v1, v4
	v_addc_co_u32_e32 v6, vcc, v6, v2, vcc
	v_mad_u64_u32 v[1:2], s[0:1], s37, v7, v[1:2]
	v_mad_u64_u32 v[7:8], s[0:1], s36, v9, 0
	v_mov_b32_e32 v4, v1
	v_lshlrev_b64 v[1:2], 3, v[3:4]
	v_mov_b32_e32 v3, v8
	v_mov_b32_e32 v10, s15
	v_mad_u64_u32 v[3:4], s[0:1], s37, v9, v[3:4]
	v_add_co_u32_e32 v9, vcc, s14, v1
	v_addc_co_u32_e32 v10, vcc, v10, v2, vcc
	v_mov_b32_e32 v1, 0xfffffc38
	v_mov_b32_e32 v2, 0x16b
	v_cmp_gt_u32_e32 vcc, s20, v0
	v_cndmask_b32_e32 v31, v1, v2, vcc
	v_add_u32_e32 v4, v31, v0
	v_mad_u64_u32 v[11:12], s[0:1], s36, v4, 0
	v_mov_b32_e32 v8, v3
	v_lshlrev_b64 v[1:2], 3, v[7:8]
	v_mov_b32_e32 v3, v12
	v_mad_u64_u32 v[3:4], s[0:1], s37, v4, v[3:4]
	v_mov_b32_e32 v8, s15
	v_add_co_u32_e32 v7, vcc, s14, v1
	v_mov_b32_e32 v12, v3
	v_lshlrev_b64 v[3:4], 3, v[11:12]
	v_addc_co_u32_e32 v8, vcc, v8, v2, vcc
	s_movk_i32 s0, 0x3c7
	v_cmp_lt_u32_e32 vcc, s0, v0
	v_mov_b32_e32 v11, s15
	v_add_co_u32_e64 v13, s[0:1], s14, v3
	v_mov_b32_e32 v32, s38
	v_addc_co_u32_e64 v14, s[0:1], v11, v4, s[0:1]
	v_mov_b32_e32 v2, 0
	v_cndmask_b32_e32 v1, 0, v32, vcc
	s_movk_i32 s0, 0x34f
	v_lshlrev_b64 v[3:4], 3, v[1:2]
	v_mov_b32_e32 v1, 0xfffffcb1
	v_mov_b32_e32 v11, 0x1e4
	v_cmp_gt_u32_e64 s[0:1], s0, v0
	v_cndmask_b32_e64 v33, v1, v11, s[0:1]
	v_add_u32_e32 v21, v33, v0
	v_mad_u64_u32 v[11:12], s[0:1], s36, v21, 0
	v_add_co_u32_e64 v3, s[0:1], v13, v3
	v_addc_co_u32_e64 v4, s[0:1], v14, v4, s[0:1]
	v_mov_b32_e32 v1, v12
	global_load_dwordx2 v[13:14], v[5:6], off
	global_load_dwordx2 v[15:16], v[9:10], off
	;; [unrolled: 1-line block ×4, first 2 shown]
	v_mad_u64_u32 v[3:4], s[0:1], s37, v21, v[1:2]
	s_movk_i32 s2, 0x2d6
	v_mov_b32_e32 v5, 0xfffffd2a
	v_mov_b32_e32 v6, 0x25d
	v_cmp_gt_u32_e64 s[2:3], s2, v0
	v_cndmask_b32_e64 v34, v5, v6, s[2:3]
	v_add_u32_e32 v8, v34, v0
	v_mov_b32_e32 v12, v3
	v_mad_u64_u32 v[5:6], s[2:3], s36, v8, 0
	s_movk_i32 s0, 0x34e
	v_lshlrev_b64 v[3:4], 3, v[11:12]
	v_cmp_lt_u32_e64 s[0:1], s0, v0
	v_cndmask_b32_e64 v1, 0, v32, s[0:1]
	v_mov_b32_e32 v7, s15
	v_add_co_u32_e64 v9, s[2:3], s14, v3
	v_addc_co_u32_e64 v10, s[2:3], v7, v4, s[2:3]
	v_lshlrev_b64 v[3:4], 3, v[1:2]
	v_mov_b32_e32 v1, v6
	v_mad_u64_u32 v[6:7], s[2:3], s37, v8, v[1:2]
	s_movk_i32 s4, 0x25d
	v_mov_b32_e32 v7, 0xfffffda3
	v_mov_b32_e32 v8, 0x2d6
	v_cmp_gt_u32_e64 s[4:5], s4, v0
	v_add_co_u32_e64 v3, s[2:3], v9, v3
	v_cndmask_b32_e64 v35, v7, v8, s[4:5]
	v_addc_co_u32_e64 v4, s[2:3], v10, v4, s[2:3]
	v_add_u32_e32 v10, v35, v0
	v_mad_u64_u32 v[7:8], s[4:5], s36, v10, 0
	s_movk_i32 s2, 0x2d5
	v_lshlrev_b64 v[5:6], 3, v[5:6]
	v_cmp_lt_u32_e64 s[2:3], s2, v0
	v_cndmask_b32_e64 v1, 0, v32, s[2:3]
	v_mov_b32_e32 v9, s15
	v_add_co_u32_e64 v11, s[4:5], s14, v5
	v_addc_co_u32_e64 v12, s[4:5], v9, v6, s[4:5]
	v_lshlrev_b64 v[5:6], 3, v[1:2]
	v_mov_b32_e32 v1, v8
	s_movk_i32 s6, 0x1e4
	v_mad_u64_u32 v[8:9], s[4:5], s37, v10, v[1:2]
	v_mov_b32_e32 v9, 0xfffffe1c
	v_mov_b32_e32 v10, 0x34f
	v_cmp_gt_u32_e64 s[6:7], s6, v0
	v_add_co_u32_e64 v5, s[4:5], v11, v5
	v_cndmask_b32_e64 v36, v9, v10, s[6:7]
	v_addc_co_u32_e64 v6, s[4:5], v12, v6, s[4:5]
	v_add_u32_e32 v12, v36, v0
	v_mad_u64_u32 v[9:10], s[6:7], s36, v12, 0
	s_movk_i32 s4, 0x25c
	v_lshlrev_b64 v[7:8], 3, v[7:8]
	v_cmp_lt_u32_e64 s[4:5], s4, v0
	v_cndmask_b32_e64 v1, 0, v32, s[4:5]
	v_mov_b32_e32 v11, s15
	v_add_co_u32_e64 v21, s[6:7], s14, v7
	v_addc_co_u32_e64 v22, s[6:7], v11, v8, s[6:7]
	v_lshlrev_b64 v[7:8], 3, v[1:2]
	v_mov_b32_e32 v1, v10
	s_movk_i32 s8, 0x16b
	v_mad_u64_u32 v[10:11], s[6:7], s37, v12, v[1:2]
	v_mov_b32_e32 v11, 0xfffffe95
	v_mov_b32_e32 v12, 0x3c8
	v_cmp_gt_u32_e64 s[8:9], s8, v0
	v_add_co_u32_e64 v7, s[6:7], v21, v7
	v_cndmask_b32_e64 v37, v11, v12, s[8:9]
	v_addc_co_u32_e64 v8, s[6:7], v22, v8, s[6:7]
	v_add_u32_e32 v22, v37, v0
	v_mad_u64_u32 v[11:12], s[8:9], s36, v22, 0
	s_movk_i32 s6, 0x1e3
	v_lshlrev_b64 v[9:10], 3, v[9:10]
	v_cmp_lt_u32_e64 s[6:7], s6, v0
	v_cndmask_b32_e64 v1, 0, v32, s[6:7]
	v_mov_b32_e32 v21, s15
	v_add_co_u32_e64 v23, s[8:9], s14, v9
	v_addc_co_u32_e64 v24, s[8:9], v21, v10, s[8:9]
	v_lshlrev_b64 v[9:10], 3, v[1:2]
	v_mov_b32_e32 v1, v12
	v_mad_u64_u32 v[21:22], s[8:9], s37, v22, v[1:2]
	s_movk_i32 s10, 0xf2
	v_mov_b32_e32 v22, 0x441
	v_mov_b32_e32 v12, v21
	;; [unrolled: 1-line block ×3, first 2 shown]
	v_cmp_gt_u32_e64 s[10:11], s10, v0
	v_add_co_u32_e64 v9, s[8:9], v23, v9
	v_cndmask_b32_e64 v38, v21, v22, s[10:11]
	v_addc_co_u32_e64 v10, s[8:9], v24, v10, s[8:9]
	v_add_u32_e32 v24, v38, v0
	v_mad_u64_u32 v[21:22], s[10:11], s36, v24, 0
	s_movk_i32 s8, 0x16a
	v_lshlrev_b64 v[11:12], 3, v[11:12]
	v_cmp_lt_u32_e64 s[8:9], s8, v0
	v_cndmask_b32_e64 v1, 0, v32, s[8:9]
	v_mov_b32_e32 v23, s15
	v_add_co_u32_e64 v25, s[10:11], s14, v11
	v_addc_co_u32_e64 v26, s[10:11], v23, v12, s[10:11]
	v_lshlrev_b64 v[11:12], 3, v[1:2]
	v_mov_b32_e32 v1, v22
	v_mad_u64_u32 v[22:23], s[10:11], s37, v24, v[1:2]
	v_add_co_u32_e64 v11, s[10:11], v25, v11
	v_addc_co_u32_e64 v12, s[10:11], v26, v12, s[10:11]
	v_lshlrev_b64 v[21:22], 3, v[21:22]
	s_movk_i32 s10, 0xf1
	v_cmp_lt_u32_e64 s[10:11], s10, v0
	v_mov_b32_e32 v23, s15
	v_add_co_u32_e64 v25, s[12:13], s14, v21
	s_movk_i32 s21, 0x79
	v_cndmask_b32_e64 v1, 0, v32, s[10:11]
	v_addc_co_u32_e64 v26, s[12:13], v23, v22, s[12:13]
	v_lshlrev_b64 v[21:22], 3, v[1:2]
	v_mov_b32_e32 v1, 0xffffff87
	v_mov_b32_e32 v23, 0x4ba
	v_cmp_gt_u32_e64 s[12:13], s21, v0
	v_cndmask_b32_e64 v39, v1, v23, s[12:13]
	v_add_u32_e32 v27, v39, v0
	v_mad_u64_u32 v[23:24], s[12:13], s36, v27, 0
	v_add_co_u32_e64 v21, s[12:13], v25, v21
	v_mov_b32_e32 v1, v24
	v_addc_co_u32_e64 v22, s[12:13], v26, v22, s[12:13]
	v_mad_u64_u32 v[24:25], s[12:13], s37, v27, v[1:2]
	global_load_dwordx2 v[3:4], v[3:4], off
	s_nop 0
	global_load_dwordx2 v[25:26], v[5:6], off
	global_load_dwordx2 v[27:28], v[7:8], off
	;; [unrolled: 1-line block ×3, first 2 shown]
	v_lshlrev_b64 v[5:6], 3, v[23:24]
	v_mov_b32_e32 v1, s15
	v_add_co_u32_e64 v23, s[12:13], s14, v5
	v_addc_co_u32_e64 v24, s[12:13], v1, v6, s[12:13]
	s_movk_i32 s12, 0x78
	v_cmp_lt_u32_e64 s[12:13], s12, v0
	v_cndmask_b32_e64 v1, 0, v32, s[12:13]
	global_load_dwordx2 v[5:6], v[11:12], off
	global_load_dwordx2 v[9:10], v[21:22], off
	v_lshlrev_b64 v[7:8], 3, v[1:2]
	v_lshl_add_u32 v1, v0, 3, 0
	v_add_co_u32_e64 v7, s[14:15], v23, v7
	v_addc_co_u32_e64 v8, s[14:15], v24, v8, s[14:15]
	global_load_dwordx2 v[7:8], v[7:8], off
	v_cndmask_b32_e64 v11, 0, 1, vcc
	v_lshlrev_b32_e32 v12, 3, v31
	v_lshlrev_b32_e32 v11, 3, v11
	v_add3_u32 v11, v1, v12, v11
	s_waitcnt vmcnt(9)
	ds_write2_b64 v1, v[13:14], v[15:16] offset1:121
	s_waitcnt vmcnt(8)
	ds_write_b64 v1, v[17:18] offset:1936
	s_waitcnt vmcnt(7)
	ds_write_b64 v11, v[19:20]
	v_cndmask_b32_e64 v11, 0, 1, s[0:1]
	v_lshlrev_b32_e32 v12, 3, v33
	v_lshlrev_b32_e32 v11, 3, v11
	v_add3_u32 v11, v1, v12, v11
	v_cndmask_b32_e64 v12, 0, 1, s[2:3]
	v_lshlrev_b32_e32 v15, 3, v34
	v_lshlrev_b32_e32 v12, 3, v12
	v_cndmask_b32_e64 v13, 0, 1, s[4:5]
	v_add3_u32 v12, v1, v15, v12
	v_lshlrev_b32_e32 v13, 3, v13
	v_cndmask_b32_e64 v14, 0, 1, s[6:7]
	s_mov_b32 s2, 0x3f575c64
	s_mov_b32 s0, 0x3ed4b147
	;; [unrolled: 1-line block ×5, first 2 shown]
	s_movk_i32 s5, 0x58
	s_mul_i32 s18, s18, s27
	s_lshl_b64 s[6:7], s[18:19], 3
	s_waitcnt vmcnt(6)
	ds_write_b64 v11, v[3:4]
	s_waitcnt vmcnt(5)
	ds_write_b64 v12, v[25:26]
	v_lshlrev_b32_e32 v12, 3, v35
	v_add3_u32 v12, v1, v12, v13
	s_waitcnt vmcnt(4)
	ds_write_b64 v12, v[27:28]
	v_lshlrev_b32_e32 v12, 3, v36
	v_lshlrev_b32_e32 v13, 3, v14
	v_cndmask_b32_e64 v3, 0, 1, s[8:9]
	v_add3_u32 v12, v1, v12, v13
	s_waitcnt vmcnt(3)
	ds_write_b64 v12, v[29:30]
	v_lshlrev_b32_e32 v12, 3, v37
	v_lshlrev_b32_e32 v3, 3, v3
	v_cndmask_b32_e64 v4, 0, 1, s[10:11]
	;; [unrolled: 6-line block ×3, first 2 shown]
	v_add3_u32 v3, v1, v3, v4
	s_waitcnt vmcnt(1)
	ds_write_b64 v3, v[9:10]
	v_lshlrev_b32_e32 v3, 3, v39
	v_lshlrev_b32_e32 v4, 3, v11
	v_add3_u32 v3, v1, v3, v4
	s_waitcnt vmcnt(0)
	ds_write_b64 v3, v[7:8]
	s_waitcnt lgkmcnt(0)
	s_barrier
	ds_read2_b64 v[7:10], v1 offset1:121
	v_add_u32_e32 v3, 0x400, v1
	ds_read2_b64 v[11:14], v3 offset0:114 offset1:235
	v_add_u32_e32 v4, 0xc00, v1
	ds_read2_b64 v[15:18], v4 offset0:100 offset1:221
	;; [unrolled: 2-line block ×3, first 2 shown]
	s_waitcnt lgkmcnt(3)
	v_add_f32_e32 v6, v7, v9
	v_add_f32_e32 v23, v8, v10
	s_waitcnt lgkmcnt(2)
	v_add_f32_e32 v6, v6, v11
	v_add_f32_e32 v23, v23, v12
	;; [unrolled: 1-line block ×4, first 2 shown]
	s_waitcnt lgkmcnt(1)
	v_add_f32_e32 v6, v6, v15
	v_add_f32_e32 v23, v23, v16
	;; [unrolled: 1-line block ×3, first 2 shown]
	v_add_u32_e32 v6, 0x1c00, v1
	v_add_f32_e32 v23, v23, v18
	s_waitcnt lgkmcnt(0)
	v_add_f32_e32 v25, v21, v15
	v_add_f32_e32 v26, v22, v16
	v_sub_f32_e32 v27, v15, v21
	v_sub_f32_e32 v28, v16, v22
	v_add_f32_e32 v29, v19, v17
	v_add_f32_e32 v30, v20, v18
	v_sub_f32_e32 v31, v17, v19
	v_sub_f32_e32 v32, v18, v20
	ds_read2_b64 v[15:18], v6 offset0:72 offset1:193
	v_add_f32_e32 v19, v24, v19
	v_add_f32_e32 v20, v23, v20
	;; [unrolled: 1-line block ×4, first 2 shown]
	s_waitcnt lgkmcnt(0)
	v_add_f32_e32 v23, v17, v11
	v_add_f32_e32 v21, v18, v12
	v_sub_f32_e32 v24, v11, v17
	v_sub_f32_e32 v22, v12, v18
	ds_read_b64 v[11:12], v1 offset:9680
	v_add_f32_e32 v33, v15, v13
	v_add_f32_e32 v34, v16, v14
	v_sub_f32_e32 v35, v13, v15
	v_sub_f32_e32 v36, v14, v16
	v_add_f32_e32 v13, v19, v15
	v_add_f32_e32 v14, v20, v16
	s_waitcnt lgkmcnt(0)
	v_sub_f32_e32 v16, v10, v12
	v_add_f32_e32 v13, v13, v17
	v_mul_f32_e32 v17, 0xbf0a6770, v16
	v_mul_f32_e32 v19, 0xbf68dda4, v16
	v_mul_f32_e32 v37, 0xbf7d64f0, v16
	v_mul_f32_e32 v39, 0xbf4178ce, v16
	v_mul_f32_e32 v16, 0xbe903f40, v16
	v_add_f32_e32 v15, v11, v9
	v_mov_b32_e32 v41, v16
	v_add_f32_e32 v10, v12, v10
	v_add_f32_e32 v14, v14, v18
	v_fma_f32 v18, v15, s2, -v17
	v_fmac_f32_e32 v17, 0x3f575c64, v15
	v_fma_f32 v20, v15, s0, -v19
	v_fmac_f32_e32 v19, 0x3ed4b147, v15
	;; [unrolled: 2-line block ×4, first 2 shown]
	v_fmac_f32_e32 v41, 0xbf75a155, v15
	v_fma_f32 v15, v15, s4, -v16
	v_sub_f32_e32 v9, v9, v11
	v_mul_f32_e32 v16, 0x3f575c64, v10
	v_mul_f32_e32 v43, 0x3ed4b147, v10
	;; [unrolled: 1-line block ×5, first 2 shown]
	v_mov_b32_e32 v42, v16
	v_mov_b32_e32 v44, v43
	;; [unrolled: 1-line block ×5, first 2 shown]
	v_fmac_f32_e32 v10, 0xbe903f40, v9
	v_fmac_f32_e32 v42, 0x3f0a6770, v9
	;; [unrolled: 1-line block ×6, first 2 shown]
	v_add_f32_e32 v50, v8, v10
	v_mul_f32_e32 v10, 0xbf68dda4, v22
	v_fmac_f32_e32 v16, 0xbf0a6770, v9
	v_fmac_f32_e32 v43, 0xbf68dda4, v9
	v_fmac_f32_e32 v45, 0xbf7d64f0, v9
	v_fmac_f32_e32 v47, 0xbf4178ce, v9
	v_add_f32_e32 v9, v7, v17
	v_add_f32_e32 v17, v8, v42
	;; [unrolled: 1-line block ×16, first 2 shown]
	v_fma_f32 v11, v23, s0, -v10
	v_fmac_f32_e32 v10, 0x3ed4b147, v23
	v_mul_f32_e32 v13, 0xbf7d64f0, v36
	v_add_f32_e32 v16, v8, v16
	v_add_f32_e32 v43, v8, v43
	;; [unrolled: 1-line block ×6, first 2 shown]
	v_mul_f32_e32 v12, 0x3ed4b147, v21
	v_fma_f32 v14, v33, s1, -v13
	v_fmac_f32_e32 v13, 0xbe11bafb, v33
	v_mov_b32_e32 v10, v12
	v_add_f32_e32 v9, v13, v9
	v_mul_f32_e32 v13, 0xbe11bafb, v34
	v_fmac_f32_e32 v10, 0x3f68dda4, v24
	v_mov_b32_e32 v15, v13
	v_add_f32_e32 v10, v10, v17
	v_fmac_f32_e32 v15, 0x3f7d64f0, v35
	v_add_f32_e32 v10, v15, v10
	v_mul_f32_e32 v15, 0xbf4178ce, v28
	v_fma_f32 v17, v25, s3, -v15
	v_fmac_f32_e32 v15, 0xbf27a4f4, v25
	v_add_f32_e32 v9, v15, v9
	v_mul_f32_e32 v15, 0xbf27a4f4, v26
	v_mov_b32_e32 v51, v15
	v_fmac_f32_e32 v51, 0x3f4178ce, v27
	v_add_f32_e32 v10, v51, v10
	v_mul_f32_e32 v51, 0xbe903f40, v32
	v_fma_f32 v52, v29, s4, -v51
	v_fmac_f32_e32 v51, 0xbf75a155, v29
	v_add_f32_e32 v9, v51, v9
	v_mul_f32_e32 v51, 0xbf75a155, v30
	v_mov_b32_e32 v53, v51
	v_fmac_f32_e32 v53, 0x3e903f40, v31
	v_add_f32_e32 v10, v53, v10
	v_mad_u32_u24 v53, v0, s5, 0
	v_fmac_f32_e32 v12, 0xbf68dda4, v24
	s_barrier
	ds_write2_b64 v53, v[7:8], v[9:10] offset1:1
	v_add_f32_e32 v8, v12, v16
	v_fmac_f32_e32 v13, 0xbf7d64f0, v35
	v_mul_f32_e32 v9, 0xbf4178ce, v22
	v_add_f32_e32 v7, v11, v18
	v_add_f32_e32 v8, v13, v8
	v_fma_f32 v11, v23, s3, -v9
	v_fmac_f32_e32 v9, 0xbf27a4f4, v23
	v_mul_f32_e32 v13, 0x3e903f40, v36
	v_add_f32_e32 v7, v14, v7
	v_add_f32_e32 v9, v9, v19
	v_mul_f32_e32 v12, 0xbf27a4f4, v21
	v_fma_f32 v14, v33, s4, -v13
	v_fmac_f32_e32 v13, 0xbf75a155, v33
	v_fmac_f32_e32 v15, 0xbf4178ce, v27
	v_mov_b32_e32 v10, v12
	v_add_f32_e32 v9, v13, v9
	v_mul_f32_e32 v13, 0xbf75a155, v34
	v_add_f32_e32 v8, v15, v8
	v_fmac_f32_e32 v10, 0x3f4178ce, v24
	v_mov_b32_e32 v15, v13
	v_add_f32_e32 v10, v10, v42
	v_fmac_f32_e32 v15, 0xbe903f40, v35
	v_add_f32_e32 v10, v15, v10
	v_mul_f32_e32 v15, 0x3f7d64f0, v28
	v_fma_f32 v16, v25, s1, -v15
	v_fmac_f32_e32 v15, 0xbe11bafb, v25
	v_add_f32_e32 v9, v15, v9
	v_mul_f32_e32 v15, 0xbe11bafb, v26
	v_add_f32_e32 v7, v17, v7
	v_mov_b32_e32 v17, v15
	v_fmac_f32_e32 v17, 0xbf7d64f0, v27
	v_add_f32_e32 v10, v17, v10
	v_mul_f32_e32 v17, 0x3f0a6770, v32
	v_fmac_f32_e32 v12, 0xbf4178ce, v24
	v_fma_f32 v18, v29, s2, -v17
	v_fmac_f32_e32 v17, 0x3f575c64, v29
	v_add_f32_e32 v12, v12, v43
	v_fmac_f32_e32 v13, 0x3e903f40, v35
	v_add_f32_e32 v9, v17, v9
	v_mul_f32_e32 v17, 0x3f575c64, v30
	v_add_f32_e32 v11, v11, v20
	v_add_f32_e32 v12, v13, v12
	v_fmac_f32_e32 v15, 0x3f7d64f0, v27
	v_mov_b32_e32 v19, v17
	v_add_f32_e32 v11, v14, v11
	v_add_f32_e32 v12, v15, v12
	v_fmac_f32_e32 v17, 0x3f0a6770, v31
	v_mul_f32_e32 v13, 0x3e903f40, v22
	v_add_f32_e32 v11, v16, v11
	v_add_f32_e32 v12, v17, v12
	v_fma_f32 v15, v23, s4, -v13
	v_fmac_f32_e32 v13, 0xbf75a155, v23
	v_mul_f32_e32 v17, 0x3f68dda4, v36
	v_add_f32_e32 v11, v18, v11
	v_add_f32_e32 v13, v13, v37
	v_mul_f32_e32 v16, 0xbf75a155, v21
	v_fma_f32 v18, v33, s0, -v17
	v_fmac_f32_e32 v17, 0x3ed4b147, v33
	v_fmac_f32_e32 v19, 0xbf0a6770, v31
	v_mov_b32_e32 v14, v16
	v_add_f32_e32 v13, v17, v13
	v_mul_f32_e32 v17, 0x3ed4b147, v34
	v_add_f32_e32 v10, v19, v10
	v_fmac_f32_e32 v14, 0xbe903f40, v24
	v_mov_b32_e32 v19, v17
	v_add_f32_e32 v14, v14, v44
	v_fmac_f32_e32 v19, 0xbf68dda4, v35
	v_add_f32_e32 v14, v19, v14
	v_mul_f32_e32 v19, 0xbf0a6770, v28
	v_fma_f32 v20, v25, s2, -v19
	v_fmac_f32_e32 v19, 0x3f575c64, v25
	v_add_f32_e32 v13, v19, v13
	v_mul_f32_e32 v19, 0x3f575c64, v26
	v_mov_b32_e32 v37, v19
	v_fmac_f32_e32 v37, 0x3f0a6770, v27
	v_add_f32_e32 v14, v37, v14
	v_mul_f32_e32 v37, 0xbf4178ce, v32
	v_fmac_f32_e32 v16, 0x3e903f40, v24
	v_fma_f32 v42, v29, s3, -v37
	v_fmac_f32_e32 v37, 0xbf27a4f4, v29
	v_add_f32_e32 v16, v16, v45
	v_fmac_f32_e32 v17, 0x3f68dda4, v35
	v_add_f32_e32 v13, v37, v13
	v_mul_f32_e32 v37, 0xbf27a4f4, v30
	v_add_f32_e32 v16, v17, v16
	v_fmac_f32_e32 v19, 0xbf0a6770, v27
	v_mov_b32_e32 v43, v37
	v_add_f32_e32 v15, v15, v38
	v_add_f32_e32 v16, v19, v16
	v_fmac_f32_e32 v37, 0xbf4178ce, v31
	v_mul_f32_e32 v17, 0x3f7d64f0, v22
	v_add_f32_e32 v15, v18, v15
	v_add_f32_e32 v16, v37, v16
	v_fma_f32 v19, v23, s1, -v17
	v_fmac_f32_e32 v17, 0xbe11bafb, v23
	v_mul_f32_e32 v37, 0xbf0a6770, v36
	v_add_f32_e32 v15, v20, v15
	v_add_f32_e32 v17, v17, v39
	v_mul_f32_e32 v20, 0xbe11bafb, v21
	v_fma_f32 v38, v33, s2, -v37
	v_fmac_f32_e32 v37, 0x3f575c64, v33
	v_mov_b32_e32 v18, v20
	v_add_f32_e32 v17, v37, v17
	v_mul_f32_e32 v37, 0x3f575c64, v34
	v_fmac_f32_e32 v18, 0xbf7d64f0, v24
	v_mov_b32_e32 v39, v37
	v_add_f32_e32 v18, v18, v46
	v_fmac_f32_e32 v39, 0x3f0a6770, v35
	v_add_f32_e32 v18, v39, v18
	v_mul_f32_e32 v39, 0xbe903f40, v28
	v_fmac_f32_e32 v20, 0x3f7d64f0, v24
	v_add_f32_e32 v15, v42, v15
	v_fma_f32 v42, v25, s4, -v39
	v_fmac_f32_e32 v39, 0xbf75a155, v25
	v_add_f32_e32 v20, v20, v47
	v_fmac_f32_e32 v37, 0xbf0a6770, v35
	v_fmac_f32_e32 v43, 0x3f4178ce, v31
	v_add_f32_e32 v17, v39, v17
	v_mul_f32_e32 v39, 0xbf75a155, v26
	v_add_f32_e32 v20, v37, v20
	v_mul_f32_e32 v37, 0x3f0a6770, v22
	v_add_f32_e32 v14, v43, v14
	v_mov_b32_e32 v43, v39
	v_add_f32_e32 v19, v19, v40
	v_fmac_f32_e32 v39, 0xbe903f40, v27
	v_mov_b32_e32 v22, v37
	v_mul_f32_e32 v36, 0xbf4178ce, v36
	v_add_f32_e32 v19, v38, v19
	v_add_f32_e32 v20, v39, v20
	v_fmac_f32_e32 v22, 0x3f575c64, v23
	v_mul_f32_e32 v38, 0x3f575c64, v21
	v_mov_b32_e32 v39, v36
	v_add_f32_e32 v22, v22, v41
	v_mov_b32_e32 v21, v38
	v_fmac_f32_e32 v39, 0xbf27a4f4, v33
	v_mul_f32_e32 v34, 0xbf27a4f4, v34
	v_fmac_f32_e32 v21, 0xbf0a6770, v24
	v_add_f32_e32 v22, v39, v22
	v_mov_b32_e32 v39, v34
	v_add_f32_e32 v21, v21, v48
	v_fmac_f32_e32 v39, 0x3f4178ce, v35
	v_mul_f32_e32 v28, 0x3f68dda4, v28
	v_add_f32_e32 v21, v39, v21
	v_mov_b32_e32 v39, v28
	v_fmac_f32_e32 v39, 0x3ed4b147, v25
	v_mul_f32_e32 v26, 0x3ed4b147, v26
	v_fmac_f32_e32 v43, 0x3e903f40, v27
	v_add_f32_e32 v22, v39, v22
	v_mov_b32_e32 v39, v26
	v_add_f32_e32 v18, v43, v18
	v_mul_f32_e32 v43, 0x3f68dda4, v32
	v_fmac_f32_e32 v39, 0xbf68dda4, v27
	v_mul_f32_e32 v32, 0xbf7d64f0, v32
	v_fma_f32 v44, v29, s0, -v43
	v_fmac_f32_e32 v43, 0x3ed4b147, v29
	v_add_f32_e32 v39, v39, v21
	v_mov_b32_e32 v21, v32
	v_fma_f32 v23, v23, s2, -v37
	v_fmac_f32_e32 v38, 0x3f0a6770, v24
	v_add_f32_e32 v17, v43, v17
	v_mul_f32_e32 v43, 0x3ed4b147, v30
	v_fmac_f32_e32 v21, 0xbe11bafb, v29
	v_mul_f32_e32 v30, 0xbe11bafb, v30
	v_add_f32_e32 v23, v23, v49
	v_add_f32_e32 v24, v38, v50
	v_fma_f32 v33, v33, s3, -v36
	v_fmac_f32_e32 v34, 0xbf4178ce, v35
	v_fmac_f32_e32 v51, 0xbe903f40, v31
	v_mov_b32_e32 v45, v43
	v_add_f32_e32 v21, v21, v22
	v_mov_b32_e32 v22, v30
	v_add_f32_e32 v23, v33, v23
	v_add_f32_e32 v24, v34, v24
	v_fma_f32 v25, v25, s0, -v28
	v_fmac_f32_e32 v26, 0x3f68dda4, v27
	v_add_f32_e32 v7, v52, v7
	v_add_f32_e32 v8, v51, v8
	v_fmac_f32_e32 v45, 0xbf68dda4, v31
	v_add_f32_e32 v19, v42, v19
	v_fmac_f32_e32 v43, 0x3f68dda4, v31
	v_fmac_f32_e32 v22, 0x3f7d64f0, v31
	v_add_f32_e32 v23, v25, v23
	v_add_f32_e32 v24, v26, v24
	v_fma_f32 v25, v29, s1, -v32
	v_fmac_f32_e32 v30, 0xbf7d64f0, v31
	v_add_f32_e32 v18, v45, v18
	v_add_f32_e32 v19, v44, v19
	;; [unrolled: 1-line block ×6, first 2 shown]
	ds_write2_b64 v53, v[9:10], v[13:14] offset0:2 offset1:3
	ds_write2_b64 v53, v[17:18], v[21:22] offset0:4 offset1:5
	;; [unrolled: 1-line block ×4, first 2 shown]
	ds_write_b64 v53, v[7:8] offset:80
	v_mul_u32_u24_e32 v7, 0x1746, v0
	v_mov_b32_e32 v8, 11
	v_mul_lo_u16_sdwa v8, v7, v8 dst_sel:DWORD dst_unused:UNUSED_PAD src0_sel:WORD_1 src1_sel:DWORD
	v_sub_u16_e32 v8, v0, v8
	v_mul_u32_u24_e32 v9, 10, v8
	v_lshlrev_b32_e32 v29, 3, v9
	s_waitcnt lgkmcnt(0)
	s_barrier
	global_load_dwordx4 v[9:12], v29, s[16:17] offset:64
	global_load_dwordx4 v[13:16], v29, s[16:17] offset:48
	;; [unrolled: 1-line block ×4, first 2 shown]
	global_load_dwordx4 v[25:28], v29, s[16:17]
	ds_read2_b64 v[29:32], v6 offset0:72 offset1:193
	ds_read_b64 v[33:34], v1 offset:9680
	v_mul_u32_u24_sdwa v7, v7, s20 dst_sel:DWORD dst_unused:UNUSED_PAD src0_sel:WORD_1 src1_sel:DWORD
	v_lshlrev_b32_e32 v8, 3, v8
	v_add3_u32 v56, 0, v7, v8
	s_movk_i32 s5, 0x4ba
	s_waitcnt vmcnt(4) lgkmcnt(1)
	v_mul_f32_e32 v35, v32, v10
	s_waitcnt lgkmcnt(0)
	v_mul_f32_e32 v36, v34, v12
	v_mul_f32_e32 v12, v33, v12
	;; [unrolled: 1-line block ×3, first 2 shown]
	v_fmac_f32_e32 v35, v31, v9
	v_fmac_f32_e32 v36, v33, v11
	v_fma_f32 v33, v34, v11, -v12
	v_fma_f32 v31, v32, v9, -v10
	ds_read2_b64 v[9:12], v5 offset0:86 offset1:207
	s_waitcnt vmcnt(3)
	v_mul_f32_e32 v32, v30, v16
	v_mul_f32_e32 v16, v29, v16
	v_fmac_f32_e32 v32, v29, v15
	v_fma_f32 v29, v30, v15, -v16
	s_waitcnt lgkmcnt(0)
	v_mul_f32_e32 v30, v12, v14
	v_fmac_f32_e32 v30, v11, v13
	v_mul_f32_e32 v11, v11, v14
	v_fma_f32 v34, v12, v13, -v11
	ds_read2_b64 v[11:14], v4 offset0:100 offset1:221
	s_waitcnt vmcnt(2)
	v_mul_f32_e32 v37, v10, v20
	v_fmac_f32_e32 v37, v9, v19
	v_mul_f32_e32 v9, v9, v20
	v_fma_f32 v19, v10, v19, -v9
	s_waitcnt lgkmcnt(0)
	v_mul_f32_e32 v20, v18, v14
	v_mul_f32_e32 v9, v18, v13
	v_fmac_f32_e32 v20, v17, v13
	v_fma_f32 v17, v17, v14, -v9
	ds_read2_b64 v[13:16], v3 offset0:114 offset1:235
	s_waitcnt vmcnt(1)
	v_mul_f32_e32 v18, v24, v12
	v_mul_f32_e32 v9, v24, v11
	v_fmac_f32_e32 v18, v23, v11
	v_fma_f32 v23, v23, v12, -v9
	s_waitcnt lgkmcnt(0)
	v_mul_f32_e32 v24, v22, v16
	v_mul_f32_e32 v9, v22, v15
	v_fmac_f32_e32 v24, v21, v15
	v_fma_f32 v15, v21, v16, -v9
	ds_read2_b64 v[9:12], v1 offset1:121
	s_waitcnt vmcnt(0)
	v_mul_f32_e32 v16, v28, v14
	v_fmac_f32_e32 v16, v27, v13
	v_mul_f32_e32 v13, v28, v13
	v_fma_f32 v13, v27, v14, -v13
	s_waitcnt lgkmcnt(0)
	v_mul_f32_e32 v14, v26, v12
	v_fmac_f32_e32 v14, v25, v11
	v_mul_f32_e32 v11, v26, v11
	v_fma_f32 v11, v25, v12, -v11
	v_sub_f32_e32 v21, v11, v33
	v_mul_f32_e32 v22, 0xbf0a6770, v21
	v_mul_f32_e32 v26, 0xbf68dda4, v21
	;; [unrolled: 1-line block ×5, first 2 shown]
	v_add_f32_e32 v12, v14, v36
	v_mov_b32_e32 v41, v21
	v_fma_f32 v25, v12, s2, -v22
	v_fmac_f32_e32 v22, 0x3f575c64, v12
	v_fma_f32 v27, v12, s0, -v26
	v_fmac_f32_e32 v26, 0x3ed4b147, v12
	;; [unrolled: 2-line block ×4, first 2 shown]
	v_fmac_f32_e32 v41, 0xbf75a155, v12
	v_fma_f32 v12, v12, s4, -v21
	v_add_f32_e32 v21, v11, v33
	v_mul_f32_e32 v43, 0x3f575c64, v21
	v_mul_f32_e32 v45, 0x3ed4b147, v21
	;; [unrolled: 1-line block ×5, first 2 shown]
	v_sub_f32_e32 v42, v14, v36
	v_mov_b32_e32 v44, v43
	v_mov_b32_e32 v46, v45
	;; [unrolled: 1-line block ×5, first 2 shown]
	v_fmac_f32_e32 v44, 0x3f0a6770, v42
	v_fmac_f32_e32 v43, 0xbf0a6770, v42
	;; [unrolled: 1-line block ×10, first 2 shown]
	v_add_f32_e32 v11, v11, v10
	v_add_f32_e32 v42, v44, v10
	;; [unrolled: 1-line block ×36, first 2 shown]
	v_sub_f32_e32 v31, v13, v31
	v_add_f32_e32 v9, v9, v30
	v_add_f32_e32 v10, v10, v33
	;; [unrolled: 1-line block ×3, first 2 shown]
	v_mul_f32_e32 v11, 0xbf68dda4, v31
	v_add_f32_e32 v9, v9, v32
	v_fma_f32 v13, v33, s0, -v11
	v_fmac_f32_e32 v11, 0x3ed4b147, v33
	v_add_f32_e32 v9, v9, v35
	v_add_f32_e32 v11, v11, v22
	;; [unrolled: 1-line block ×3, first 2 shown]
	v_sub_f32_e32 v29, v15, v29
	v_add_f32_e32 v9, v9, v36
	v_add_f32_e32 v36, v24, v32
	v_mul_f32_e32 v15, 0xbf7d64f0, v29
	v_sub_f32_e32 v35, v16, v35
	v_mul_f32_e32 v14, 0x3ed4b147, v21
	v_fma_f32 v16, v36, s1, -v15
	v_fmac_f32_e32 v15, 0xbe11bafb, v36
	v_mov_b32_e32 v12, v14
	v_add_f32_e32 v11, v15, v11
	v_mul_f32_e32 v15, 0xbe11bafb, v22
	v_fmac_f32_e32 v12, 0x3f68dda4, v35
	v_sub_f32_e32 v24, v24, v32
	v_mov_b32_e32 v32, v15
	v_add_f32_e32 v12, v12, v42
	v_fmac_f32_e32 v32, 0x3f7d64f0, v24
	v_add_f32_e32 v42, v23, v34
	v_sub_f32_e32 v23, v23, v34
	v_add_f32_e32 v12, v32, v12
	v_add_f32_e32 v32, v18, v30
	v_sub_f32_e32 v30, v18, v30
	v_mul_f32_e32 v18, 0xbf4178ce, v23
	v_fma_f32 v34, v32, s3, -v18
	v_fmac_f32_e32 v18, 0xbf27a4f4, v32
	v_add_f32_e32 v11, v18, v11
	v_mul_f32_e32 v18, 0xbf27a4f4, v42
	v_mov_b32_e32 v53, v18
	v_fmac_f32_e32 v53, 0x3f4178ce, v30
	v_sub_f32_e32 v55, v17, v19
	v_add_f32_e32 v12, v53, v12
	v_add_f32_e32 v53, v20, v37
	;; [unrolled: 1-line block ×3, first 2 shown]
	v_mul_f32_e32 v17, 0xbe903f40, v55
	v_fma_f32 v19, v53, s4, -v17
	v_fmac_f32_e32 v17, 0xbf75a155, v53
	v_add_f32_e32 v11, v17, v11
	v_mul_f32_e32 v17, 0xbf75a155, v54
	v_sub_f32_e32 v37, v20, v37
	v_mov_b32_e32 v20, v17
	v_fmac_f32_e32 v20, 0x3e903f40, v37
	v_add_f32_e32 v12, v20, v12
	s_barrier
	ds_write2_b64 v56, v[9:10], v[11:12] offset1:11
	v_mul_f32_e32 v9, 0xbf4178ce, v31
	v_add_f32_e32 v7, v13, v25
	v_fmac_f32_e32 v14, 0xbf68dda4, v35
	v_fma_f32 v11, v33, s3, -v9
	v_fmac_f32_e32 v9, 0xbf27a4f4, v33
	v_mul_f32_e32 v13, 0x3e903f40, v29
	v_add_f32_e32 v8, v14, v43
	v_add_f32_e32 v9, v9, v26
	v_mul_f32_e32 v12, 0xbf27a4f4, v21
	v_fma_f32 v14, v36, s4, -v13
	v_fmac_f32_e32 v13, 0xbf75a155, v36
	v_fmac_f32_e32 v15, 0xbf7d64f0, v24
	v_mov_b32_e32 v10, v12
	v_add_f32_e32 v9, v13, v9
	v_mul_f32_e32 v13, 0xbf75a155, v22
	v_add_f32_e32 v8, v15, v8
	v_fmac_f32_e32 v10, 0x3f4178ce, v35
	v_mov_b32_e32 v15, v13
	v_add_f32_e32 v10, v10, v44
	v_fmac_f32_e32 v15, 0xbe903f40, v24
	v_add_f32_e32 v10, v15, v10
	v_mul_f32_e32 v15, 0x3f7d64f0, v23
	v_add_f32_e32 v7, v16, v7
	v_fmac_f32_e32 v18, 0xbf4178ce, v30
	v_fma_f32 v16, v32, s1, -v15
	v_fmac_f32_e32 v15, 0xbe11bafb, v32
	v_add_f32_e32 v8, v18, v8
	v_fmac_f32_e32 v17, 0xbe903f40, v37
	v_add_f32_e32 v9, v15, v9
	v_mul_f32_e32 v15, 0xbe11bafb, v42
	v_add_f32_e32 v8, v17, v8
	v_mov_b32_e32 v17, v15
	v_fmac_f32_e32 v17, 0xbf7d64f0, v30
	v_add_f32_e32 v10, v17, v10
	v_mul_f32_e32 v17, 0x3f0a6770, v55
	v_fmac_f32_e32 v12, 0xbf4178ce, v35
	v_fma_f32 v18, v53, s2, -v17
	v_fmac_f32_e32 v17, 0x3f575c64, v53
	v_add_f32_e32 v12, v12, v45
	v_fmac_f32_e32 v13, 0x3e903f40, v24
	v_add_f32_e32 v7, v34, v7
	v_add_f32_e32 v9, v17, v9
	v_mul_f32_e32 v17, 0x3f575c64, v54
	v_add_f32_e32 v11, v11, v27
	v_add_f32_e32 v12, v13, v12
	v_fmac_f32_e32 v15, 0x3f7d64f0, v30
	v_add_f32_e32 v7, v19, v7
	v_mov_b32_e32 v19, v17
	v_add_f32_e32 v11, v14, v11
	v_add_f32_e32 v12, v15, v12
	v_fmac_f32_e32 v17, 0x3f0a6770, v37
	v_mul_f32_e32 v13, 0x3e903f40, v31
	v_add_f32_e32 v11, v16, v11
	v_add_f32_e32 v12, v17, v12
	v_fma_f32 v15, v33, s4, -v13
	v_fmac_f32_e32 v13, 0xbf75a155, v33
	v_mul_f32_e32 v17, 0x3f68dda4, v29
	v_add_f32_e32 v11, v18, v11
	v_add_f32_e32 v13, v13, v28
	v_mul_f32_e32 v16, 0xbf75a155, v21
	v_fma_f32 v18, v36, s0, -v17
	v_fmac_f32_e32 v17, 0x3ed4b147, v36
	v_fmac_f32_e32 v19, 0xbf0a6770, v37
	v_mov_b32_e32 v14, v16
	v_add_f32_e32 v13, v17, v13
	v_mul_f32_e32 v17, 0x3ed4b147, v22
	v_add_f32_e32 v10, v19, v10
	v_fmac_f32_e32 v14, 0xbe903f40, v35
	v_mov_b32_e32 v19, v17
	v_add_f32_e32 v14, v14, v46
	v_fmac_f32_e32 v19, 0xbf68dda4, v24
	v_add_f32_e32 v14, v19, v14
	v_mul_f32_e32 v19, 0xbf0a6770, v23
	v_fma_f32 v20, v32, s2, -v19
	v_fmac_f32_e32 v19, 0x3f575c64, v32
	v_add_f32_e32 v13, v19, v13
	v_mul_f32_e32 v19, 0x3f575c64, v42
	v_mov_b32_e32 v25, v19
	v_fmac_f32_e32 v25, 0x3f0a6770, v30
	v_add_f32_e32 v14, v25, v14
	v_mul_f32_e32 v25, 0xbf4178ce, v55
	v_fmac_f32_e32 v16, 0x3e903f40, v35
	v_fma_f32 v26, v53, s3, -v25
	v_fmac_f32_e32 v25, 0xbf27a4f4, v53
	v_add_f32_e32 v16, v16, v47
	v_fmac_f32_e32 v17, 0x3f68dda4, v24
	v_add_f32_e32 v13, v25, v13
	v_mul_f32_e32 v25, 0xbf27a4f4, v54
	v_add_f32_e32 v15, v15, v38
	v_add_f32_e32 v16, v17, v16
	v_fmac_f32_e32 v19, 0xbf0a6770, v30
	v_mov_b32_e32 v27, v25
	v_add_f32_e32 v15, v18, v15
	v_add_f32_e32 v16, v19, v16
	v_fmac_f32_e32 v25, 0xbf4178ce, v37
	v_mul_f32_e32 v17, 0x3f7d64f0, v31
	v_add_f32_e32 v15, v20, v15
	v_add_f32_e32 v16, v25, v16
	v_fma_f32 v19, v33, s1, -v17
	v_fmac_f32_e32 v17, 0xbe11bafb, v33
	v_mul_f32_e32 v25, 0xbf0a6770, v29
	v_add_f32_e32 v15, v26, v15
	v_add_f32_e32 v17, v17, v39
	v_mul_f32_e32 v20, 0xbe11bafb, v21
	v_fma_f32 v26, v36, s2, -v25
	v_fmac_f32_e32 v25, 0x3f575c64, v36
	v_fmac_f32_e32 v27, 0x3f4178ce, v37
	v_mov_b32_e32 v18, v20
	v_add_f32_e32 v17, v25, v17
	v_mul_f32_e32 v25, 0x3f575c64, v22
	v_add_f32_e32 v14, v27, v14
	v_fmac_f32_e32 v18, 0xbf7d64f0, v35
	v_mov_b32_e32 v27, v25
	v_add_f32_e32 v18, v18, v48
	v_fmac_f32_e32 v27, 0x3f0a6770, v24
	v_fmac_f32_e32 v20, 0x3f7d64f0, v35
	v_add_f32_e32 v18, v27, v18
	v_mul_f32_e32 v27, 0xbe903f40, v23
	v_add_f32_e32 v19, v19, v40
	v_add_f32_e32 v20, v20, v49
	v_fmac_f32_e32 v25, 0xbf0a6770, v24
	v_fma_f32 v28, v32, s4, -v27
	v_fmac_f32_e32 v27, 0xbf75a155, v32
	v_add_f32_e32 v19, v26, v19
	v_add_f32_e32 v20, v25, v20
	v_mul_f32_e32 v25, 0x3f0a6770, v31
	v_add_f32_e32 v17, v27, v17
	v_mul_f32_e32 v27, 0xbf75a155, v42
	v_add_f32_e32 v19, v28, v19
	v_mov_b32_e32 v26, v25
	v_mul_f32_e32 v28, 0xbf4178ce, v29
	v_mov_b32_e32 v34, v27
	v_fmac_f32_e32 v27, 0xbe903f40, v30
	v_fmac_f32_e32 v26, 0x3f575c64, v33
	v_mov_b32_e32 v29, v28
	v_add_f32_e32 v20, v27, v20
	v_add_f32_e32 v26, v26, v41
	v_mul_f32_e32 v27, 0x3f575c64, v21
	v_fmac_f32_e32 v29, 0xbf27a4f4, v36
	v_mov_b32_e32 v21, v27
	v_add_f32_e32 v26, v29, v26
	v_mul_f32_e32 v29, 0xbf27a4f4, v22
	v_fmac_f32_e32 v21, 0xbf0a6770, v35
	v_mov_b32_e32 v22, v29
	v_fmac_f32_e32 v34, 0x3e903f40, v30
	v_add_f32_e32 v21, v21, v50
	v_fmac_f32_e32 v22, 0x3f4178ce, v24
	v_mul_f32_e32 v23, 0x3f68dda4, v23
	v_add_f32_e32 v18, v34, v18
	v_mul_f32_e32 v34, 0x3f68dda4, v55
	v_add_f32_e32 v21, v22, v21
	v_mov_b32_e32 v22, v23
	v_fma_f32 v38, v53, s0, -v34
	v_fmac_f32_e32 v34, 0x3ed4b147, v53
	v_fmac_f32_e32 v22, 0x3ed4b147, v32
	v_add_f32_e32 v17, v34, v17
	v_mul_f32_e32 v34, 0x3ed4b147, v54
	v_add_f32_e32 v22, v22, v26
	v_mul_f32_e32 v26, 0x3ed4b147, v42
	v_mov_b32_e32 v39, v34
	v_fmac_f32_e32 v34, 0x3f68dda4, v37
	v_mov_b32_e32 v31, v26
	v_add_f32_e32 v20, v34, v20
	v_fmac_f32_e32 v31, 0xbf68dda4, v30
	v_mul_f32_e32 v34, 0xbf7d64f0, v55
	v_add_f32_e32 v31, v31, v21
	v_mov_b32_e32 v21, v34
	v_fma_f32 v25, v33, s2, -v25
	v_fmac_f32_e32 v27, 0x3f0a6770, v35
	v_add_f32_e32 v19, v38, v19
	v_fmac_f32_e32 v21, 0xbe11bafb, v53
	v_mul_f32_e32 v38, 0xbe11bafb, v54
	v_add_f32_e32 v25, v25, v51
	v_add_f32_e32 v27, v27, v52
	v_fma_f32 v28, v36, s3, -v28
	v_fmac_f32_e32 v29, 0xbf4178ce, v24
	v_add_f32_e32 v21, v21, v22
	v_mov_b32_e32 v22, v38
	v_add_f32_e32 v25, v28, v25
	v_add_f32_e32 v24, v29, v27
	v_fma_f32 v23, v32, s0, -v23
	v_fmac_f32_e32 v26, 0x3f68dda4, v30
	v_fmac_f32_e32 v39, 0xbf68dda4, v37
	;; [unrolled: 1-line block ×3, first 2 shown]
	v_add_f32_e32 v23, v23, v25
	v_add_f32_e32 v24, v26, v24
	v_fma_f32 v25, v53, s1, -v34
	v_fmac_f32_e32 v38, 0xbf7d64f0, v37
	v_add_f32_e32 v18, v39, v18
	v_add_f32_e32 v22, v22, v31
	v_add_f32_e32 v23, v25, v23
	v_add_f32_e32 v24, v38, v24
	ds_write2_b64 v56, v[9:10], v[13:14] offset0:22 offset1:33
	ds_write2_b64 v56, v[17:18], v[21:22] offset0:44 offset1:55
	;; [unrolled: 1-line block ×4, first 2 shown]
	ds_write_b64 v56, v[7:8] offset:880
	v_mul_u32_u24_e32 v7, 0x21e, v0
	v_mul_lo_u16_sdwa v8, v7, s21 dst_sel:DWORD dst_unused:UNUSED_PAD src0_sel:WORD_1 src1_sel:DWORD
	v_sub_u16_e32 v8, v0, v8
	v_mul_lo_u16_e32 v8, 10, v8
	v_lshlrev_b32_e32 v28, 3, v8
	s_waitcnt lgkmcnt(0)
	s_barrier
	global_load_dwordx4 v[8:11], v28, s[16:17] offset:928
	global_load_dwordx4 v[12:15], v28, s[16:17] offset:944
	global_load_dwordx4 v[16:19], v28, s[16:17] offset:912
	global_load_dwordx4 v[20:23], v28, s[16:17] offset:896
	global_load_dwordx4 v[24:27], v28, s[16:17] offset:880
	ds_read2_b64 v[28:31], v5 offset0:86 offset1:207
	ds_read2_b64 v[32:35], v6 offset0:72 offset1:193
	s_waitcnt vmcnt(4) lgkmcnt(1)
	v_mul_f32_e32 v5, v31, v9
	v_mul_f32_e32 v6, v30, v9
	v_fmac_f32_e32 v5, v30, v8
	v_fma_f32 v6, v31, v8, -v6
	s_waitcnt lgkmcnt(0)
	v_mul_f32_e32 v8, v32, v11
	v_fma_f32 v31, v33, v10, -v8
	ds_read_b64 v[8:9], v1 offset:9680
	v_mul_f32_e32 v30, v33, v11
	v_fmac_f32_e32 v30, v32, v10
	s_waitcnt vmcnt(3)
	v_mul_f32_e32 v32, v35, v13
	v_fmac_f32_e32 v32, v34, v12
	v_mul_f32_e32 v10, v34, v13
	s_waitcnt lgkmcnt(0)
	v_mul_f32_e32 v34, v9, v15
	v_fmac_f32_e32 v34, v8, v14
	v_mul_f32_e32 v8, v8, v15
	v_fma_f32 v33, v35, v12, -v10
	v_fma_f32 v35, v9, v14, -v8
	ds_read2_b64 v[11:14], v4 offset0:100 offset1:221
	s_waitcnt vmcnt(2)
	v_mul_f32_e32 v4, v28, v19
	v_mul_f32_e32 v8, v29, v19
	v_fma_f32 v10, v29, v18, -v4
	v_fmac_f32_e32 v8, v28, v18
	s_waitcnt lgkmcnt(0)
	v_mul_f32_e32 v19, v17, v14
	v_mul_f32_e32 v4, v17, v13
	v_fmac_f32_e32 v19, v16, v13
	v_fma_f32 v28, v16, v14, -v4
	ds_read2_b64 v[13:16], v3 offset0:114 offset1:235
	s_waitcnt vmcnt(1)
	v_mul_f32_e32 v29, v23, v12
	v_mul_f32_e32 v3, v23, v11
	v_fmac_f32_e32 v29, v22, v11
	v_fma_f32 v22, v22, v12, -v3
	s_waitcnt lgkmcnt(0)
	v_mul_f32_e32 v23, v21, v16
	v_mul_f32_e32 v3, v21, v15
	v_fmac_f32_e32 v23, v20, v15
	v_fma_f32 v20, v20, v16, -v3
	ds_read2_b64 v[15:18], v1 offset1:121
	s_waitcnt vmcnt(0)
	v_mul_f32_e32 v21, v27, v14
	v_mul_f32_e32 v1, v27, v13
	v_fmac_f32_e32 v21, v26, v13
	v_fma_f32 v26, v26, v14, -v1
	s_waitcnt lgkmcnt(0)
	v_mul_f32_e32 v3, v25, v17
	v_fma_f32 v3, v24, v18, -v3
	v_mul_f32_e32 v1, v25, v18
	v_sub_f32_e32 v9, v3, v35
	v_fmac_f32_e32 v1, v24, v17
	v_mul_f32_e32 v11, 0xbf0a6770, v9
	v_mul_f32_e32 v13, 0xbf68dda4, v9
	;; [unrolled: 1-line block ×5, first 2 shown]
	v_add_f32_e32 v4, v1, v34
	v_mov_b32_e32 v27, v9
	v_fma_f32 v12, v4, s2, -v11
	v_fmac_f32_e32 v11, 0x3f575c64, v4
	v_fma_f32 v14, v4, s0, -v13
	v_fmac_f32_e32 v13, 0x3ed4b147, v4
	;; [unrolled: 2-line block ×4, first 2 shown]
	v_fmac_f32_e32 v27, 0xbf75a155, v4
	v_fma_f32 v4, v4, s4, -v9
	v_add_f32_e32 v9, v3, v35
	v_mul_f32_e32 v37, 0x3f575c64, v9
	v_mul_f32_e32 v39, 0x3ed4b147, v9
	;; [unrolled: 1-line block ×5, first 2 shown]
	v_sub_f32_e32 v36, v1, v34
	v_mov_b32_e32 v38, v37
	v_mov_b32_e32 v40, v39
	;; [unrolled: 1-line block ×5, first 2 shown]
	v_fmac_f32_e32 v38, 0x3f0a6770, v36
	v_fmac_f32_e32 v37, 0xbf0a6770, v36
	;; [unrolled: 1-line block ×10, first 2 shown]
	v_add_f32_e32 v36, v1, v15
	v_mul_lo_u16_sdwa v1, v7, s5 dst_sel:DWORD dst_unused:UNUSED_PAD src0_sel:WORD_1 src1_sel:DWORD
	v_add_u32_e32 v0, v0, v1
	v_mul_lo_u32 v1, v0, s26
	s_add_u32 s5, s30, s6
	s_addc_u32 s8, s31, s7
	s_lshl_b64 s[6:7], s[24:25], 3
	v_add_f32_e32 v47, v11, v15
	v_add_f32_e32 v48, v12, v15
	s_add_u32 s5, s5, s6
	v_lshlrev_b64 v[11:12], 3, v[1:2]
	s_addc_u32 s6, s8, s7
	v_mov_b32_e32 v0, s6
	v_add_co_u32_e32 v11, vcc, s5, v11
	v_add_f32_e32 v46, v3, v16
	v_addc_co_u32_e32 v12, vcc, v0, v12, vcc
	v_add_f32_e32 v0, v36, v21
	v_add_f32_e32 v7, v46, v26
	;; [unrolled: 1-line block ×19, first 2 shown]
	v_sub_f32_e32 v33, v26, v33
	v_add_f32_e32 v50, v14, v15
	v_add_f32_e32 v14, v7, v35
	;; [unrolled: 1-line block ×3, first 2 shown]
	v_mul_f32_e32 v7, 0xbf68dda4, v33
	v_add_f32_e32 v36, v20, v31
	v_sub_f32_e32 v31, v20, v31
	v_add_f32_e32 v51, v17, v15
	v_add_f32_e32 v52, v18, v15
	;; [unrolled: 1-line block ×6, first 2 shown]
	v_fma_f32 v15, v0, s0, -v7
	v_fmac_f32_e32 v7, 0x3ed4b147, v0
	v_add_f32_e32 v35, v23, v30
	v_mul_f32_e32 v18, 0xbf7d64f0, v31
	v_add_f32_e32 v38, v38, v16
	v_add_f32_e32 v37, v37, v16
	;; [unrolled: 1-line block ×11, first 2 shown]
	v_mul_f32_e32 v16, 0x3ed4b147, v34
	v_fma_f32 v20, v35, s1, -v18
	v_fmac_f32_e32 v18, 0xbe11bafb, v35
	v_sub_f32_e32 v32, v21, v32
	v_mov_b32_e32 v17, v16
	v_add_f32_e32 v7, v18, v7
	v_mul_f32_e32 v18, 0xbe11bafb, v36
	v_fmac_f32_e32 v17, 0x3f68dda4, v32
	v_sub_f32_e32 v30, v23, v30
	v_mov_b32_e32 v21, v18
	v_sub_f32_e32 v46, v22, v6
	v_add_f32_e32 v17, v17, v38
	v_fmac_f32_e32 v21, 0x3f7d64f0, v30
	v_add_f32_e32 v38, v29, v5
	v_sub_f32_e32 v29, v29, v5
	v_mul_f32_e32 v5, 0xbf4178ce, v46
	v_add_f32_e32 v17, v21, v17
	v_add_f32_e32 v45, v22, v6
	v_fma_f32 v21, v38, s3, -v5
	v_fmac_f32_e32 v5, 0xbf27a4f4, v38
	v_add_f32_e32 v5, v5, v7
	v_mul_f32_e32 v7, 0xbf27a4f4, v45
	v_mov_b32_e32 v6, v7
	v_add_f32_e32 v54, v28, v10
	v_sub_f32_e32 v10, v28, v10
	v_fmac_f32_e32 v6, 0x3f4178ce, v29
	v_add_f32_e32 v47, v19, v8
	v_sub_f32_e32 v53, v19, v8
	v_mul_f32_e32 v8, 0xbe903f40, v10
	v_add_f32_e32 v6, v6, v17
	v_fma_f32 v17, v47, s4, -v8
	v_fmac_f32_e32 v8, 0xbf75a155, v47
	v_add_f32_e32 v15, v15, v48
	v_fmac_f32_e32 v16, 0xbf68dda4, v32
	v_add_f32_e32 v5, v8, v5
	v_mul_f32_e32 v8, 0xbf75a155, v54
	v_add_f32_e32 v16, v16, v37
	v_add_f32_e32 v15, v20, v15
	v_fmac_f32_e32 v18, 0xbf7d64f0, v30
	v_mov_b32_e32 v19, v8
	v_add_f32_e32 v16, v18, v16
	v_add_f32_e32 v15, v21, v15
	v_fmac_f32_e32 v7, 0xbf4178ce, v29
	v_fmac_f32_e32 v19, 0x3e903f40, v53
	v_add_f32_e32 v16, v7, v16
	v_add_f32_e32 v7, v17, v15
	v_mul_f32_e32 v15, 0xbf4178ce, v33
	v_add_f32_e32 v6, v19, v6
	v_fma_f32 v17, v0, s3, -v15
	v_fmac_f32_e32 v15, 0xbf27a4f4, v0
	v_mul_f32_e32 v19, 0x3e903f40, v31
	v_fmac_f32_e32 v8, 0xbe903f40, v53
	v_add_f32_e32 v15, v15, v49
	v_mul_f32_e32 v18, 0xbf27a4f4, v34
	v_fma_f32 v20, v35, s4, -v19
	v_fmac_f32_e32 v19, 0xbf75a155, v35
	v_add_f32_e32 v8, v8, v16
	v_mov_b32_e32 v16, v18
	v_add_f32_e32 v15, v19, v15
	v_mul_f32_e32 v19, 0xbf75a155, v36
	v_fmac_f32_e32 v16, 0x3f4178ce, v32
	v_mov_b32_e32 v21, v19
	v_add_f32_e32 v16, v16, v40
	v_fmac_f32_e32 v21, 0xbe903f40, v30
	v_add_f32_e32 v16, v21, v16
	v_mul_f32_e32 v21, 0x3f7d64f0, v46
	v_fma_f32 v22, v38, s1, -v21
	v_fmac_f32_e32 v21, 0xbe11bafb, v38
	v_add_f32_e32 v15, v21, v15
	v_mul_f32_e32 v21, 0xbe11bafb, v45
	v_mov_b32_e32 v23, v21
	v_fmac_f32_e32 v23, 0xbf7d64f0, v29
	v_add_f32_e32 v16, v23, v16
	v_mul_f32_e32 v23, 0x3f0a6770, v10
	v_fmac_f32_e32 v18, 0xbf4178ce, v32
	v_fma_f32 v26, v47, s2, -v23
	v_fmac_f32_e32 v23, 0x3f575c64, v47
	v_add_f32_e32 v18, v18, v39
	v_fmac_f32_e32 v19, 0x3e903f40, v30
	v_add_f32_e32 v15, v23, v15
	v_mul_f32_e32 v23, 0x3f575c64, v54
	v_add_f32_e32 v17, v17, v50
	v_add_f32_e32 v18, v19, v18
	v_fmac_f32_e32 v21, 0x3f7d64f0, v29
	v_mov_b32_e32 v28, v23
	v_add_f32_e32 v17, v20, v17
	v_add_f32_e32 v18, v21, v18
	v_fmac_f32_e32 v23, 0x3f0a6770, v53
	v_mul_f32_e32 v19, 0x3e903f40, v33
	v_add_f32_e32 v17, v22, v17
	v_add_f32_e32 v18, v23, v18
	v_fma_f32 v21, v0, s4, -v19
	v_fmac_f32_e32 v19, 0xbf75a155, v0
	v_mul_f32_e32 v23, 0x3f68dda4, v31
	v_add_f32_e32 v17, v26, v17
	v_add_f32_e32 v19, v19, v51
	v_mul_f32_e32 v22, 0xbf75a155, v34
	v_fma_f32 v26, v35, s0, -v23
	v_fmac_f32_e32 v23, 0x3ed4b147, v35
	v_fmac_f32_e32 v28, 0xbf0a6770, v53
	v_mov_b32_e32 v20, v22
	v_add_f32_e32 v19, v23, v19
	v_mul_f32_e32 v23, 0x3ed4b147, v36
	v_add_f32_e32 v16, v28, v16
	v_fmac_f32_e32 v20, 0xbe903f40, v32
	v_mov_b32_e32 v28, v23
	v_add_f32_e32 v20, v20, v42
	v_fmac_f32_e32 v28, 0xbf68dda4, v30
	v_add_f32_e32 v20, v28, v20
	v_mul_f32_e32 v28, 0xbf0a6770, v46
	v_fma_f32 v37, v38, s2, -v28
	v_fmac_f32_e32 v28, 0x3f575c64, v38
	v_fmac_f32_e32 v22, 0x3e903f40, v32
	v_add_f32_e32 v19, v28, v19
	v_mul_f32_e32 v28, 0x3f575c64, v45
	v_add_f32_e32 v22, v22, v41
	v_fmac_f32_e32 v23, 0x3f68dda4, v30
	v_mov_b32_e32 v39, v28
	v_add_f32_e32 v21, v21, v52
	v_add_f32_e32 v22, v23, v22
	v_fmac_f32_e32 v28, 0xbf0a6770, v29
	v_mul_f32_e32 v23, 0x3f7d64f0, v33
	v_fmac_f32_e32 v39, 0x3f0a6770, v29
	v_add_f32_e32 v21, v26, v21
	v_add_f32_e32 v22, v28, v22
	v_fma_f32 v26, v0, s1, -v23
	v_fmac_f32_e32 v23, 0xbe11bafb, v0
	v_mul_f32_e32 v28, 0xbe11bafb, v34
	v_add_f32_e32 v20, v39, v20
	v_mul_f32_e32 v39, 0xbf4178ce, v10
	v_add_f32_e32 v23, v23, v24
	v_mov_b32_e32 v24, v28
	v_fmac_f32_e32 v28, 0x3f7d64f0, v32
	v_fma_f32 v40, v47, s3, -v39
	v_fmac_f32_e32 v39, 0xbf27a4f4, v47
	v_add_f32_e32 v25, v26, v25
	v_add_f32_e32 v26, v28, v43
	v_mul_f32_e32 v28, 0x3f0a6770, v33
	v_add_f32_e32 v19, v39, v19
	v_mul_f32_e32 v39, 0xbf27a4f4, v54
	v_mov_b32_e32 v33, v28
	v_mov_b32_e32 v42, v39
	v_add_f32_e32 v21, v37, v21
	v_fmac_f32_e32 v39, 0xbf4178ce, v53
	v_mul_f32_e32 v37, 0xbf0a6770, v31
	v_fmac_f32_e32 v33, 0x3f575c64, v0
	v_add_f32_e32 v22, v39, v22
	v_fma_f32 v39, v35, s2, -v37
	v_fmac_f32_e32 v37, 0x3f575c64, v35
	v_add_f32_e32 v27, v33, v27
	v_mul_f32_e32 v33, 0x3f575c64, v34
	v_add_f32_e32 v23, v37, v23
	v_mul_f32_e32 v37, 0x3f575c64, v36
	v_mov_b32_e32 v34, v33
	v_add_f32_e32 v21, v40, v21
	v_fmac_f32_e32 v24, 0xbf7d64f0, v32
	v_mov_b32_e32 v40, v37
	v_fmac_f32_e32 v34, 0xbf0a6770, v32
	v_mul_f32_e32 v31, 0xbf4178ce, v31
	v_add_f32_e32 v24, v24, v44
	v_fmac_f32_e32 v40, 0x3f0a6770, v30
	v_add_f32_e32 v9, v34, v9
	v_mov_b32_e32 v34, v31
	v_add_f32_e32 v24, v40, v24
	v_mul_f32_e32 v40, 0xbe903f40, v46
	v_fmac_f32_e32 v34, 0xbf27a4f4, v35
	v_fma_f32 v41, v38, s4, -v40
	v_fmac_f32_e32 v40, 0xbf75a155, v38
	v_add_f32_e32 v27, v34, v27
	v_mul_f32_e32 v34, 0xbf27a4f4, v36
	v_fmac_f32_e32 v42, 0x3f4178ce, v53
	v_add_f32_e32 v23, v40, v23
	v_mul_f32_e32 v40, 0xbf75a155, v45
	v_mov_b32_e32 v36, v34
	v_add_f32_e32 v20, v42, v20
	v_mov_b32_e32 v42, v40
	v_fmac_f32_e32 v36, 0x3f4178ce, v30
	v_fmac_f32_e32 v42, 0x3e903f40, v29
	;; [unrolled: 1-line block ×3, first 2 shown]
	v_add_f32_e32 v9, v36, v9
	v_mul_f32_e32 v36, 0x3f68dda4, v46
	v_fma_f32 v0, v0, s2, -v28
	v_add_f32_e32 v24, v42, v24
	v_mul_f32_e32 v42, 0x3f68dda4, v10
	v_add_f32_e32 v26, v37, v26
	v_mov_b32_e32 v37, v36
	v_add_f32_e32 v0, v0, v4
	v_fma_f32 v4, v35, s3, -v31
	v_fma_f32 v44, v47, s0, -v42
	v_fmac_f32_e32 v37, 0x3ed4b147, v38
	v_fmac_f32_e32 v33, 0x3f0a6770, v32
	v_add_f32_e32 v0, v4, v0
	v_fma_f32 v4, v38, s0, -v36
	s_mul_i32 s0, s26, 0x79
	v_fmac_f32_e32 v40, 0xbe903f40, v29
	v_add_f32_e32 v27, v37, v27
	v_mul_f32_e32 v37, 0x3ed4b147, v45
	v_add_f32_e32 v3, v33, v3
	v_fmac_f32_e32 v34, 0xbf4178ce, v30
	v_add_u32_e32 v1, s0, v1
	v_add_f32_e32 v25, v39, v25
	v_add_f32_e32 v26, v40, v26
	v_mov_b32_e32 v39, v37
	v_mul_f32_e32 v40, 0xbf7d64f0, v10
	v_add_f32_e32 v3, v34, v3
	v_fmac_f32_e32 v37, 0x3f68dda4, v29
	global_store_dwordx2 v[11:12], v[13:14], off
	v_lshlrev_b64 v[11:12], 3, v[1:2]
	v_add_f32_e32 v0, v4, v0
	v_add_f32_e32 v4, v37, v3
	v_fma_f32 v3, v47, s1, -v40
	v_add_f32_e32 v3, v3, v0
	v_mov_b32_e32 v0, s6
	v_add_co_u32_e32 v11, vcc, s5, v11
	v_addc_co_u32_e32 v12, vcc, v0, v12, vcc
	v_add_u32_e32 v1, s0, v1
	global_store_dwordx2 v[11:12], v[5:6], off
	v_lshlrev_b64 v[5:6], 3, v[1:2]
	v_add_u32_e32 v1, s0, v1
	v_add_co_u32_e32 v5, vcc, s5, v5
	v_addc_co_u32_e32 v6, vcc, v0, v6, vcc
	global_store_dwordx2 v[5:6], v[15:16], off
	v_lshlrev_b64 v[5:6], 3, v[1:2]
	v_fmac_f32_e32 v42, 0x3ed4b147, v47
	v_add_co_u32_e32 v5, vcc, s5, v5
	v_addc_co_u32_e32 v6, vcc, v0, v6, vcc
	v_add_u32_e32 v1, s0, v1
	v_add_f32_e32 v23, v42, v23
	v_mul_f32_e32 v42, 0x3ed4b147, v54
	global_store_dwordx2 v[5:6], v[19:20], off
	v_lshlrev_b64 v[5:6], 3, v[1:2]
	v_mov_b32_e32 v48, v42
	v_fmac_f32_e32 v39, 0xbf68dda4, v29
	v_fmac_f32_e32 v48, 0xbf68dda4, v53
	v_add_f32_e32 v39, v39, v9
	v_mov_b32_e32 v9, v40
	v_add_co_u32_e32 v5, vcc, s5, v5
	v_add_f32_e32 v24, v48, v24
	v_fmac_f32_e32 v9, 0xbe11bafb, v47
	v_addc_co_u32_e32 v6, vcc, v0, v6, vcc
	v_add_u32_e32 v1, s0, v1
	v_add_f32_e32 v9, v9, v27
	v_mul_f32_e32 v27, 0xbe11bafb, v54
	global_store_dwordx2 v[5:6], v[23:24], off
	v_lshlrev_b64 v[5:6], 3, v[1:2]
	v_mov_b32_e32 v10, v27
	v_fmac_f32_e32 v10, 0x3f7d64f0, v53
	v_add_co_u32_e32 v5, vcc, s5, v5
	v_add_f32_e32 v10, v10, v39
	v_addc_co_u32_e32 v6, vcc, v0, v6, vcc
	v_add_u32_e32 v1, s0, v1
	global_store_dwordx2 v[5:6], v[9:10], off
	v_lshlrev_b64 v[5:6], 3, v[1:2]
	v_fmac_f32_e32 v27, 0xbf7d64f0, v53
	v_add_co_u32_e32 v5, vcc, s5, v5
	v_add_f32_e32 v4, v27, v4
	v_addc_co_u32_e32 v6, vcc, v0, v6, vcc
	v_add_u32_e32 v1, s0, v1
	global_store_dwordx2 v[5:6], v[3:4], off
	v_lshlrev_b64 v[3:4], 3, v[1:2]
	v_add_f32_e32 v25, v41, v25
	v_fmac_f32_e32 v42, 0x3f68dda4, v53
	v_add_co_u32_e32 v3, vcc, s5, v3
	v_add_f32_e32 v25, v44, v25
	v_add_f32_e32 v26, v42, v26
	v_addc_co_u32_e32 v4, vcc, v0, v4, vcc
	v_add_u32_e32 v1, s0, v1
	global_store_dwordx2 v[3:4], v[25:26], off
	v_lshlrev_b64 v[3:4], 3, v[1:2]
	v_add_u32_e32 v1, s0, v1
	v_add_co_u32_e32 v3, vcc, s5, v3
	v_addc_co_u32_e32 v4, vcc, v0, v4, vcc
	global_store_dwordx2 v[3:4], v[21:22], off
	v_lshlrev_b64 v[3:4], 3, v[1:2]
	v_add_u32_e32 v1, s0, v1
	v_add_co_u32_e32 v3, vcc, s5, v3
	v_addc_co_u32_e32 v4, vcc, v0, v4, vcc
	v_lshlrev_b64 v[0:1], 3, v[1:2]
	v_mov_b32_e32 v2, s6
	v_add_co_u32_e32 v0, vcc, s5, v0
	v_addc_co_u32_e32 v1, vcc, v2, v1, vcc
	global_store_dwordx2 v[3:4], v[17:18], off
	global_store_dwordx2 v[0:1], v[7:8], off
	s_endpgm
	.section	.rodata,"a",@progbits
	.p2align	6, 0x0
	.amdhsa_kernel fft_rtc_back_len1331_factors_11_11_11_wgs_121_tpt_121_sp_op_CI_CI_sbrc_aligned_dirReg
		.amdhsa_group_segment_fixed_size 0
		.amdhsa_private_segment_fixed_size 0
		.amdhsa_kernarg_size 104
		.amdhsa_user_sgpr_count 6
		.amdhsa_user_sgpr_private_segment_buffer 1
		.amdhsa_user_sgpr_dispatch_ptr 0
		.amdhsa_user_sgpr_queue_ptr 0
		.amdhsa_user_sgpr_kernarg_segment_ptr 1
		.amdhsa_user_sgpr_dispatch_id 0
		.amdhsa_user_sgpr_flat_scratch_init 0
		.amdhsa_user_sgpr_private_segment_size 0
		.amdhsa_uses_dynamic_stack 0
		.amdhsa_system_sgpr_private_segment_wavefront_offset 0
		.amdhsa_system_sgpr_workgroup_id_x 1
		.amdhsa_system_sgpr_workgroup_id_y 0
		.amdhsa_system_sgpr_workgroup_id_z 0
		.amdhsa_system_sgpr_workgroup_info 0
		.amdhsa_system_vgpr_workitem_id 0
		.amdhsa_next_free_vgpr 57
		.amdhsa_next_free_sgpr 41
		.amdhsa_reserve_vcc 1
		.amdhsa_reserve_flat_scratch 0
		.amdhsa_float_round_mode_32 0
		.amdhsa_float_round_mode_16_64 0
		.amdhsa_float_denorm_mode_32 3
		.amdhsa_float_denorm_mode_16_64 3
		.amdhsa_dx10_clamp 1
		.amdhsa_ieee_mode 1
		.amdhsa_fp16_overflow 0
		.amdhsa_exception_fp_ieee_invalid_op 0
		.amdhsa_exception_fp_denorm_src 0
		.amdhsa_exception_fp_ieee_div_zero 0
		.amdhsa_exception_fp_ieee_overflow 0
		.amdhsa_exception_fp_ieee_underflow 0
		.amdhsa_exception_fp_ieee_inexact 0
		.amdhsa_exception_int_div_zero 0
	.end_amdhsa_kernel
	.text
.Lfunc_end0:
	.size	fft_rtc_back_len1331_factors_11_11_11_wgs_121_tpt_121_sp_op_CI_CI_sbrc_aligned_dirReg, .Lfunc_end0-fft_rtc_back_len1331_factors_11_11_11_wgs_121_tpt_121_sp_op_CI_CI_sbrc_aligned_dirReg
                                        ; -- End function
	.section	.AMDGPU.csdata,"",@progbits
; Kernel info:
; codeLenInByte = 9784
; NumSgprs: 45
; NumVgprs: 57
; ScratchSize: 0
; MemoryBound: 0
; FloatMode: 240
; IeeeMode: 1
; LDSByteSize: 0 bytes/workgroup (compile time only)
; SGPRBlocks: 5
; VGPRBlocks: 14
; NumSGPRsForWavesPerEU: 45
; NumVGPRsForWavesPerEU: 57
; Occupancy: 4
; WaveLimiterHint : 1
; COMPUTE_PGM_RSRC2:SCRATCH_EN: 0
; COMPUTE_PGM_RSRC2:USER_SGPR: 6
; COMPUTE_PGM_RSRC2:TRAP_HANDLER: 0
; COMPUTE_PGM_RSRC2:TGID_X_EN: 1
; COMPUTE_PGM_RSRC2:TGID_Y_EN: 0
; COMPUTE_PGM_RSRC2:TGID_Z_EN: 0
; COMPUTE_PGM_RSRC2:TIDIG_COMP_CNT: 0
	.type	__hip_cuid_4080e7b0b1ca7bd,@object ; @__hip_cuid_4080e7b0b1ca7bd
	.section	.bss,"aw",@nobits
	.globl	__hip_cuid_4080e7b0b1ca7bd
__hip_cuid_4080e7b0b1ca7bd:
	.byte	0                               ; 0x0
	.size	__hip_cuid_4080e7b0b1ca7bd, 1

	.ident	"AMD clang version 19.0.0git (https://github.com/RadeonOpenCompute/llvm-project roc-6.4.0 25133 c7fe45cf4b819c5991fe208aaa96edf142730f1d)"
	.section	".note.GNU-stack","",@progbits
	.addrsig
	.addrsig_sym __hip_cuid_4080e7b0b1ca7bd
	.amdgpu_metadata
---
amdhsa.kernels:
  - .args:
      - .actual_access:  read_only
        .address_space:  global
        .offset:         0
        .size:           8
        .value_kind:     global_buffer
      - .offset:         8
        .size:           8
        .value_kind:     by_value
      - .actual_access:  read_only
        .address_space:  global
        .offset:         16
        .size:           8
        .value_kind:     global_buffer
      - .actual_access:  read_only
        .address_space:  global
        .offset:         24
        .size:           8
        .value_kind:     global_buffer
      - .actual_access:  read_only
        .address_space:  global
        .offset:         32
        .size:           8
        .value_kind:     global_buffer
      - .offset:         40
        .size:           8
        .value_kind:     by_value
      - .actual_access:  read_only
        .address_space:  global
        .offset:         48
        .size:           8
        .value_kind:     global_buffer
      - .actual_access:  read_only
        .address_space:  global
        .offset:         56
        .size:           8
        .value_kind:     global_buffer
      - .offset:         64
        .size:           4
        .value_kind:     by_value
      - .actual_access:  read_only
        .address_space:  global
        .offset:         72
        .size:           8
        .value_kind:     global_buffer
      - .actual_access:  read_only
        .address_space:  global
        .offset:         80
        .size:           8
        .value_kind:     global_buffer
      - .actual_access:  read_only
        .address_space:  global
        .offset:         88
        .size:           8
        .value_kind:     global_buffer
      - .actual_access:  write_only
        .address_space:  global
        .offset:         96
        .size:           8
        .value_kind:     global_buffer
    .group_segment_fixed_size: 0
    .kernarg_segment_align: 8
    .kernarg_segment_size: 104
    .language:       OpenCL C
    .language_version:
      - 2
      - 0
    .max_flat_workgroup_size: 121
    .name:           fft_rtc_back_len1331_factors_11_11_11_wgs_121_tpt_121_sp_op_CI_CI_sbrc_aligned_dirReg
    .private_segment_fixed_size: 0
    .sgpr_count:     45
    .sgpr_spill_count: 0
    .symbol:         fft_rtc_back_len1331_factors_11_11_11_wgs_121_tpt_121_sp_op_CI_CI_sbrc_aligned_dirReg.kd
    .uniform_work_group_size: 1
    .uses_dynamic_stack: false
    .vgpr_count:     57
    .vgpr_spill_count: 0
    .wavefront_size: 64
amdhsa.target:   amdgcn-amd-amdhsa--gfx906
amdhsa.version:
  - 1
  - 2
...

	.end_amdgpu_metadata
